;; amdgpu-corpus repo=ROCm/rocFFT kind=compiled arch=gfx1030 opt=O3
	.text
	.amdgcn_target "amdgcn-amd-amdhsa--gfx1030"
	.amdhsa_code_object_version 6
	.protected	fft_rtc_back_len1870_factors_17_10_11_wgs_187_tpt_187_halfLds_sp_op_CI_CI_unitstride_sbrr_R2C_dirReg ; -- Begin function fft_rtc_back_len1870_factors_17_10_11_wgs_187_tpt_187_halfLds_sp_op_CI_CI_unitstride_sbrr_R2C_dirReg
	.globl	fft_rtc_back_len1870_factors_17_10_11_wgs_187_tpt_187_halfLds_sp_op_CI_CI_unitstride_sbrr_R2C_dirReg
	.p2align	8
	.type	fft_rtc_back_len1870_factors_17_10_11_wgs_187_tpt_187_halfLds_sp_op_CI_CI_unitstride_sbrr_R2C_dirReg,@function
fft_rtc_back_len1870_factors_17_10_11_wgs_187_tpt_187_halfLds_sp_op_CI_CI_unitstride_sbrr_R2C_dirReg: ; @fft_rtc_back_len1870_factors_17_10_11_wgs_187_tpt_187_halfLds_sp_op_CI_CI_unitstride_sbrr_R2C_dirReg
; %bb.0:
	s_clause 0x2
	s_load_dwordx4 s[12:15], s[4:5], 0x0
	s_load_dwordx4 s[8:11], s[4:5], 0x58
	;; [unrolled: 1-line block ×3, first 2 shown]
	v_mul_u32_u24_e32 v1, 0x15f, v0
	v_mov_b32_e32 v3, 0
	v_add_nc_u32_sdwa v5, s6, v1 dst_sel:DWORD dst_unused:UNUSED_PAD src0_sel:DWORD src1_sel:WORD_1
	v_mov_b32_e32 v1, 0
	v_mov_b32_e32 v6, v3
	v_mov_b32_e32 v2, 0
	s_waitcnt lgkmcnt(0)
	v_cmp_lt_u64_e64 s0, s[14:15], 2
	s_and_b32 vcc_lo, exec_lo, s0
	s_cbranch_vccnz .LBB0_8
; %bb.1:
	s_load_dwordx2 s[0:1], s[4:5], 0x10
	v_mov_b32_e32 v1, 0
	v_mov_b32_e32 v2, 0
	s_add_u32 s2, s18, 8
	s_addc_u32 s3, s19, 0
	s_add_u32 s6, s16, 8
	s_addc_u32 s7, s17, 0
	v_mov_b32_e32 v33, v2
	v_mov_b32_e32 v32, v1
	s_mov_b64 s[22:23], 1
	s_waitcnt lgkmcnt(0)
	s_add_u32 s20, s0, 8
	s_addc_u32 s21, s1, 0
.LBB0_2:                                ; =>This Inner Loop Header: Depth=1
	s_load_dwordx2 s[24:25], s[20:21], 0x0
                                        ; implicit-def: $vgpr36_vgpr37
	s_mov_b32 s0, exec_lo
	s_waitcnt lgkmcnt(0)
	v_or_b32_e32 v4, s25, v6
	v_cmpx_ne_u64_e32 0, v[3:4]
	s_xor_b32 s1, exec_lo, s0
	s_cbranch_execz .LBB0_4
; %bb.3:                                ;   in Loop: Header=BB0_2 Depth=1
	v_cvt_f32_u32_e32 v4, s24
	v_cvt_f32_u32_e32 v7, s25
	s_sub_u32 s0, 0, s24
	s_subb_u32 s26, 0, s25
	v_fmac_f32_e32 v4, 0x4f800000, v7
	v_rcp_f32_e32 v4, v4
	v_mul_f32_e32 v4, 0x5f7ffffc, v4
	v_mul_f32_e32 v7, 0x2f800000, v4
	v_trunc_f32_e32 v7, v7
	v_fmac_f32_e32 v4, 0xcf800000, v7
	v_cvt_u32_f32_e32 v7, v7
	v_cvt_u32_f32_e32 v4, v4
	v_mul_lo_u32 v8, s0, v7
	v_mul_hi_u32 v9, s0, v4
	v_mul_lo_u32 v10, s26, v4
	v_add_nc_u32_e32 v8, v9, v8
	v_mul_lo_u32 v9, s0, v4
	v_add_nc_u32_e32 v8, v8, v10
	v_mul_hi_u32 v10, v4, v9
	v_mul_lo_u32 v11, v4, v8
	v_mul_hi_u32 v12, v4, v8
	v_mul_hi_u32 v13, v7, v9
	v_mul_lo_u32 v9, v7, v9
	v_mul_hi_u32 v14, v7, v8
	v_mul_lo_u32 v8, v7, v8
	v_add_co_u32 v10, vcc_lo, v10, v11
	v_add_co_ci_u32_e32 v11, vcc_lo, 0, v12, vcc_lo
	v_add_co_u32 v9, vcc_lo, v10, v9
	v_add_co_ci_u32_e32 v9, vcc_lo, v11, v13, vcc_lo
	v_add_co_ci_u32_e32 v10, vcc_lo, 0, v14, vcc_lo
	v_add_co_u32 v8, vcc_lo, v9, v8
	v_add_co_ci_u32_e32 v9, vcc_lo, 0, v10, vcc_lo
	v_add_co_u32 v4, vcc_lo, v4, v8
	v_add_co_ci_u32_e32 v7, vcc_lo, v7, v9, vcc_lo
	v_mul_hi_u32 v8, s0, v4
	v_mul_lo_u32 v10, s26, v4
	v_mul_lo_u32 v9, s0, v7
	v_add_nc_u32_e32 v8, v8, v9
	v_mul_lo_u32 v9, s0, v4
	v_add_nc_u32_e32 v8, v8, v10
	v_mul_hi_u32 v10, v4, v9
	v_mul_lo_u32 v11, v4, v8
	v_mul_hi_u32 v12, v4, v8
	v_mul_hi_u32 v13, v7, v9
	v_mul_lo_u32 v9, v7, v9
	v_mul_hi_u32 v14, v7, v8
	v_mul_lo_u32 v8, v7, v8
	v_add_co_u32 v10, vcc_lo, v10, v11
	v_add_co_ci_u32_e32 v11, vcc_lo, 0, v12, vcc_lo
	v_add_co_u32 v9, vcc_lo, v10, v9
	v_add_co_ci_u32_e32 v9, vcc_lo, v11, v13, vcc_lo
	v_add_co_ci_u32_e32 v10, vcc_lo, 0, v14, vcc_lo
	v_add_co_u32 v8, vcc_lo, v9, v8
	v_add_co_ci_u32_e32 v9, vcc_lo, 0, v10, vcc_lo
	v_add_co_u32 v4, vcc_lo, v4, v8
	v_add_co_ci_u32_e32 v11, vcc_lo, v7, v9, vcc_lo
	v_mul_hi_u32 v13, v5, v4
	v_mad_u64_u32 v[9:10], null, v6, v4, 0
	v_mad_u64_u32 v[7:8], null, v5, v11, 0
	;; [unrolled: 1-line block ×3, first 2 shown]
	v_add_co_u32 v4, vcc_lo, v13, v7
	v_add_co_ci_u32_e32 v7, vcc_lo, 0, v8, vcc_lo
	v_add_co_u32 v4, vcc_lo, v4, v9
	v_add_co_ci_u32_e32 v4, vcc_lo, v7, v10, vcc_lo
	v_add_co_ci_u32_e32 v7, vcc_lo, 0, v12, vcc_lo
	v_add_co_u32 v4, vcc_lo, v4, v11
	v_add_co_ci_u32_e32 v9, vcc_lo, 0, v7, vcc_lo
	v_mul_lo_u32 v10, s25, v4
	v_mad_u64_u32 v[7:8], null, s24, v4, 0
	v_mul_lo_u32 v11, s24, v9
	v_sub_co_u32 v7, vcc_lo, v5, v7
	v_add3_u32 v8, v8, v11, v10
	v_sub_nc_u32_e32 v10, v6, v8
	v_subrev_co_ci_u32_e64 v10, s0, s25, v10, vcc_lo
	v_add_co_u32 v11, s0, v4, 2
	v_add_co_ci_u32_e64 v12, s0, 0, v9, s0
	v_sub_co_u32 v13, s0, v7, s24
	v_sub_co_ci_u32_e32 v8, vcc_lo, v6, v8, vcc_lo
	v_subrev_co_ci_u32_e64 v10, s0, 0, v10, s0
	v_cmp_le_u32_e32 vcc_lo, s24, v13
	v_cmp_eq_u32_e64 s0, s25, v8
	v_cndmask_b32_e64 v13, 0, -1, vcc_lo
	v_cmp_le_u32_e32 vcc_lo, s25, v10
	v_cndmask_b32_e64 v14, 0, -1, vcc_lo
	v_cmp_le_u32_e32 vcc_lo, s24, v7
	;; [unrolled: 2-line block ×3, first 2 shown]
	v_cndmask_b32_e64 v15, 0, -1, vcc_lo
	v_cmp_eq_u32_e32 vcc_lo, s25, v10
	v_cndmask_b32_e64 v7, v15, v7, s0
	v_cndmask_b32_e32 v10, v14, v13, vcc_lo
	v_add_co_u32 v13, vcc_lo, v4, 1
	v_add_co_ci_u32_e32 v14, vcc_lo, 0, v9, vcc_lo
	v_cmp_ne_u32_e32 vcc_lo, 0, v10
	v_cndmask_b32_e32 v8, v14, v12, vcc_lo
	v_cndmask_b32_e32 v10, v13, v11, vcc_lo
	v_cmp_ne_u32_e32 vcc_lo, 0, v7
	v_cndmask_b32_e32 v37, v9, v8, vcc_lo
	v_cndmask_b32_e32 v36, v4, v10, vcc_lo
.LBB0_4:                                ;   in Loop: Header=BB0_2 Depth=1
	s_andn2_saveexec_b32 s0, s1
	s_cbranch_execz .LBB0_6
; %bb.5:                                ;   in Loop: Header=BB0_2 Depth=1
	v_cvt_f32_u32_e32 v4, s24
	s_sub_i32 s1, 0, s24
	v_mov_b32_e32 v37, v3
	v_rcp_iflag_f32_e32 v4, v4
	v_mul_f32_e32 v4, 0x4f7ffffe, v4
	v_cvt_u32_f32_e32 v4, v4
	v_mul_lo_u32 v7, s1, v4
	v_mul_hi_u32 v7, v4, v7
	v_add_nc_u32_e32 v4, v4, v7
	v_mul_hi_u32 v4, v5, v4
	v_mul_lo_u32 v7, v4, s24
	v_add_nc_u32_e32 v8, 1, v4
	v_sub_nc_u32_e32 v7, v5, v7
	v_subrev_nc_u32_e32 v9, s24, v7
	v_cmp_le_u32_e32 vcc_lo, s24, v7
	v_cndmask_b32_e32 v7, v7, v9, vcc_lo
	v_cndmask_b32_e32 v4, v4, v8, vcc_lo
	v_cmp_le_u32_e32 vcc_lo, s24, v7
	v_add_nc_u32_e32 v8, 1, v4
	v_cndmask_b32_e32 v36, v4, v8, vcc_lo
.LBB0_6:                                ;   in Loop: Header=BB0_2 Depth=1
	s_or_b32 exec_lo, exec_lo, s0
	v_mul_lo_u32 v4, v37, s24
	v_mul_lo_u32 v9, v36, s25
	s_load_dwordx2 s[0:1], s[6:7], 0x0
	v_mad_u64_u32 v[7:8], null, v36, s24, 0
	s_load_dwordx2 s[24:25], s[2:3], 0x0
	s_add_u32 s22, s22, 1
	s_addc_u32 s23, s23, 0
	s_add_u32 s2, s2, 8
	s_addc_u32 s3, s3, 0
	s_add_u32 s6, s6, 8
	v_add3_u32 v4, v8, v9, v4
	v_sub_co_u32 v5, vcc_lo, v5, v7
	s_addc_u32 s7, s7, 0
	s_add_u32 s20, s20, 8
	v_sub_co_ci_u32_e32 v4, vcc_lo, v6, v4, vcc_lo
	s_addc_u32 s21, s21, 0
	s_waitcnt lgkmcnt(0)
	v_mul_lo_u32 v6, s0, v4
	v_mul_lo_u32 v7, s1, v5
	v_mad_u64_u32 v[1:2], null, s0, v5, v[1:2]
	v_mul_lo_u32 v4, s24, v4
	v_mul_lo_u32 v8, s25, v5
	v_mad_u64_u32 v[32:33], null, s24, v5, v[32:33]
	v_cmp_ge_u64_e64 s0, s[22:23], s[14:15]
	v_add3_u32 v2, v7, v2, v6
	v_add3_u32 v33, v8, v33, v4
	s_and_b32 vcc_lo, exec_lo, s0
	s_cbranch_vccnz .LBB0_9
; %bb.7:                                ;   in Loop: Header=BB0_2 Depth=1
	v_mov_b32_e32 v5, v36
	v_mov_b32_e32 v6, v37
	s_branch .LBB0_2
.LBB0_8:
	v_mov_b32_e32 v33, v2
	v_mov_b32_e32 v37, v6
	;; [unrolled: 1-line block ×4, first 2 shown]
.LBB0_9:
	s_load_dwordx2 s[0:1], s[4:5], 0x28
	v_mul_hi_u32 v3, 0x15e75bc, v0
	s_lshl_b64 s[4:5], s[14:15], 3
                                        ; implicit-def: $vgpr34
	s_add_u32 s2, s18, s4
	s_addc_u32 s3, s19, s5
	s_waitcnt lgkmcnt(0)
	v_cmp_gt_u64_e32 vcc_lo, s[0:1], v[36:37]
	v_cmp_le_u64_e64 s0, s[0:1], v[36:37]
	s_and_saveexec_b32 s1, s0
	s_xor_b32 s0, exec_lo, s1
; %bb.10:
	v_mul_u32_u24_e32 v1, 0xbb, v3
                                        ; implicit-def: $vgpr3
	v_sub_nc_u32_e32 v34, v0, v1
                                        ; implicit-def: $vgpr0
                                        ; implicit-def: $vgpr1_vgpr2
; %bb.11:
	s_andn2_saveexec_b32 s1, s0
	s_cbranch_execz .LBB0_13
; %bb.12:
	s_add_u32 s4, s16, s4
	s_addc_u32 s5, s17, s5
	v_lshlrev_b64 v[1:2], 3, v[1:2]
	s_load_dwordx2 s[4:5], s[4:5], 0x0
	s_waitcnt lgkmcnt(0)
	v_mul_lo_u32 v6, s5, v36
	v_mul_lo_u32 v7, s4, v37
	v_mad_u64_u32 v[4:5], null, s4, v36, 0
	v_add3_u32 v5, v5, v7, v6
	v_mul_u32_u24_e32 v6, 0xbb, v3
	v_lshlrev_b64 v[3:4], 3, v[4:5]
	v_sub_nc_u32_e32 v34, v0, v6
	v_lshlrev_b32_e32 v20, 3, v34
	v_add_co_u32 v0, s0, s8, v3
	v_add_co_ci_u32_e64 v3, s0, s9, v4, s0
	v_add_co_u32 v0, s0, v0, v1
	v_add_co_ci_u32_e64 v1, s0, v3, v2, s0
	;; [unrolled: 2-line block ×3, first 2 shown]
	v_add_nc_u32_e32 v20, 0, v20
	v_add_co_u32 v2, s0, 0x800, v0
	v_add_co_ci_u32_e64 v3, s0, 0, v1, s0
	v_add_co_u32 v4, s0, 0x1000, v0
	v_add_co_ci_u32_e64 v5, s0, 0, v1, s0
	;; [unrolled: 2-line block ×6, first 2 shown]
	s_clause 0x9
	global_load_dwordx2 v[14:15], v[0:1], off
	global_load_dwordx2 v[0:1], v[0:1], off offset:1496
	global_load_dwordx2 v[2:3], v[2:3], off offset:944
	;; [unrolled: 1-line block ×9, first 2 shown]
	v_add_nc_u32_e32 v21, 0xa00, v20
	v_add_nc_u32_e32 v22, 0x1600, v20
	;; [unrolled: 1-line block ×4, first 2 shown]
	s_waitcnt vmcnt(8)
	ds_write2_b64 v20, v[14:15], v[0:1] offset1:187
	s_waitcnt vmcnt(6)
	ds_write2_b64 v21, v[2:3], v[16:17] offset0:54 offset1:241
	s_waitcnt vmcnt(4)
	ds_write2_b64 v22, v[4:5], v[6:7] offset0:44 offset1:231
	;; [unrolled: 2-line block ×4, first 2 shown]
.LBB0_13:
	s_or_b32 exec_lo, exec_lo, s1
	v_lshl_add_u32 v42, v34, 3, 0
	s_waitcnt lgkmcnt(0)
	s_barrier
	buffer_gl0_inv
	s_mov_b32 s1, exec_lo
	ds_read2_b64 v[0:3], v42 offset1:110
	ds_read_b64 v[40:41], v42 offset:14080
	v_add_nc_u32_e32 v4, 0x400, v42
	v_add_nc_u32_e32 v5, 0x3000, v42
	v_add_nc_u32_e32 v8, 0xc00, v42
	v_add_nc_u32_e32 v9, 0x2800, v42
	ds_read2_b64 v[28:31], v4 offset0:92 offset1:202
	ds_read2_b64 v[4:7], v5 offset0:4 offset1:114
	;; [unrolled: 1-line block ×4, first 2 shown]
	v_add_nc_u32_e32 v13, 0x1400, v42
	v_add_nc_u32_e32 v14, 0x2000, v42
	s_waitcnt lgkmcnt(4)
	v_sub_f32_e32 v58, v3, v41
	v_add_f32_e32 v62, v41, v3
	v_add_f32_e32 v35, v40, v2
	v_sub_f32_e32 v50, v2, v40
	v_mul_f32_e32 v74, 0xbf06c442, v58
	v_mul_f32_e32 v77, 0xbf59a7d5, v62
	s_waitcnt lgkmcnt(2)
	v_add_f32_e32 v63, v7, v29
	v_sub_f32_e32 v59, v29, v7
	v_add_f32_e32 v43, v6, v28
	v_sub_f32_e32 v44, v28, v6
	;; [unrolled: 2-line block ×3, first 2 shown]
	v_fma_f32 v12, 0xbf59a7d5, v35, -v74
	v_fmamk_f32 v24, v50, 0xbf06c442, v77
	v_mul_f32_e32 v79, 0x3f65296c, v59
	v_mul_f32_e32 v88, 0x3ee437d1, v63
	v_add_f32_e32 v45, v4, v30
	v_sub_f32_e32 v46, v30, v4
	s_waitcnt lgkmcnt(0)
	v_sub_f32_e32 v61, v21, v11
	v_mul_f32_e32 v89, 0xbf7ee86f, v60
	v_mul_f32_e32 v91, 0x3dbcf732, v64
	v_add_f32_e32 v25, v0, v12
	ds_read2_b64 v[16:19], v13 offset0:20 offset1:130
	ds_read2_b64 v[12:15], v14 offset0:76 offset1:186
	v_fma_f32 v26, 0x3ee437d1, v43, -v79
	v_add_f32_e32 v24, v1, v24
	v_fmamk_f32 v27, v44, 0x3f65296c, v88
	v_add_f32_e32 v47, v10, v20
	v_mul_f32_e32 v87, 0x3f4c4adb, v61
	v_fma_f32 v38, 0x3dbcf732, v45, -v89
	v_add_f32_e32 v25, v26, v25
	v_fmamk_f32 v26, v46, 0xbf7ee86f, v91
	v_add_f32_e32 v24, v27, v24
	v_fma_f32 v39, 0xbf1a4643, v47, -v87
	v_add_f32_e32 v65, v11, v21
	v_add_f32_e32 v25, v38, v25
	v_sub_f32_e32 v66, v23, v9
	v_add_f32_e32 v38, v26, v24
	v_add_nc_u32_e32 v24, 0x1800, v42
	v_sub_f32_e32 v48, v20, v10
	v_add_f32_e32 v39, v39, v25
	v_add_f32_e32 v49, v8, v22
	v_mul_f32_e32 v92, 0xbf1a4643, v65
	ds_read2_b64 v[24:27], v24 offset0:112 offset1:222
	v_add_f32_e32 v70, v9, v23
	v_mul_f32_e32 v90, 0xbeb8f4ab, v66
	s_waitcnt lgkmcnt(1)
	v_sub_f32_e32 v71, v17, v15
	v_fmamk_f32 v53, v48, 0x3f4c4adb, v92
	v_sub_f32_e32 v52, v22, v8
	v_mul_f32_e32 v97, 0x3f6eb680, v70
	v_fma_f32 v54, 0x3f6eb680, v49, -v90
	v_add_f32_e32 v51, v14, v16
	v_mul_f32_e32 v93, 0xbe3c28d5, v71
	v_add_f32_e32 v73, v15, v17
	v_add_f32_e32 v38, v53, v38
	v_fmamk_f32 v53, v52, 0xbeb8f4ab, v97
	v_add_f32_e32 v39, v54, v39
	v_fma_f32 v55, 0xbf7ba420, v51, -v93
	v_sub_f32_e32 v54, v16, v14
	v_mul_f32_e32 v98, 0xbf7ba420, v73
	v_sub_f32_e32 v69, v19, v13
	v_add_f32_e32 v72, v13, v19
	v_add_f32_e32 v38, v53, v38
	;; [unrolled: 1-line block ×3, first 2 shown]
	v_fmamk_f32 v56, v54, 0xbe3c28d5, v98
	v_add_f32_e32 v53, v12, v18
	v_mul_f32_e32 v94, 0x3f2c7751, v69
	v_sub_f32_e32 v55, v18, v12
	v_mul_f32_e32 v99, 0x3f3d2fb0, v72
	s_waitcnt lgkmcnt(0)
	v_sub_f32_e32 v67, v25, v27
	v_add_f32_e32 v68, v27, v25
	v_add_f32_e32 v38, v56, v38
	v_fma_f32 v75, 0x3f3d2fb0, v53, -v94
	v_fmamk_f32 v76, v55, 0x3f2c7751, v99
	v_add_f32_e32 v56, v26, v24
	v_mul_f32_e32 v95, 0xbf763a35, v67
	v_sub_f32_e32 v57, v24, v26
	v_mul_f32_e32 v96, 0xbe8c1d8e, v68
	v_add_f32_e32 v39, v75, v39
	v_add_f32_e32 v75, v76, v38
	v_fma_f32 v38, 0xbe8c1d8e, v56, -v95
	v_fmamk_f32 v76, v57, 0xbf763a35, v96
	s_barrier
	buffer_gl0_inv
	v_add_f32_e32 v38, v38, v39
	v_add_f32_e32 v39, v76, v75
	v_cmpx_gt_u32_e32 0x6e, v34
	s_cbranch_execz .LBB0_15
; %bb.14:
	v_add_f32_e32 v3, v1, v3
	v_mul_f32_e32 v80, 0xbf7ba420, v62
	v_add_f32_e32 v2, v0, v2
	v_mul_f32_e32 v76, 0x3f6eb680, v63
	v_mul_f32_e32 v78, 0xbe3c28d5, v58
	v_add_f32_e32 v3, v3, v29
	v_fmamk_f32 v29, v50, 0x3e3c28d5, v80
	v_mul_f32_e32 v75, 0xbf59a7d5, v64
	v_add_f32_e32 v2, v2, v28
	v_fmamk_f32 v28, v44, 0xbeb8f4ab, v76
	v_add_f32_e32 v3, v3, v31
	v_add_f32_e32 v29, v1, v29
	v_mul_f32_e32 v82, 0x3eb8f4ab, v59
	v_fmamk_f32 v81, v35, 0xbf7ba420, v78
	v_add_f32_e32 v2, v2, v30
	v_fmamk_f32 v31, v46, 0x3f06c442, v75
	v_add_f32_e32 v28, v28, v29
	v_mul_f32_e32 v30, 0x3f3d2fb0, v65
	v_add_f32_e32 v3, v3, v21
	v_fmamk_f32 v21, v43, 0x3f6eb680, v82
	v_add_f32_e32 v29, v0, v81
	v_mul_f32_e32 v84, 0xbf06c442, v60
	v_mul_f32_e32 v81, 0xbf1a4643, v70
	v_add_f32_e32 v28, v31, v28
	v_fmamk_f32 v31, v48, 0xbf2c7751, v30
	v_add_f32_e32 v21, v21, v29
	v_fmamk_f32 v29, v45, 0xbf59a7d5, v84
	v_mul_f32_e32 v85, 0x3f2c7751, v61
	v_fmamk_f32 v83, v52, 0x3f4c4adb, v81
	v_add_f32_e32 v28, v31, v28
	v_mul_f32_e32 v31, 0x3ee437d1, v73
	v_add_f32_e32 v21, v29, v21
	v_fmamk_f32 v29, v47, 0x3f3d2fb0, v85
	v_mul_f32_e32 v86, 0xbf4c4adb, v66
	v_add_f32_e32 v100, v83, v28
	v_fmamk_f32 v101, v54, 0xbf65296c, v31
	;; [unrolled: 3-line block ×3, first 2 shown]
	v_mul_f32_e32 v83, 0x3f65296c, v71
	v_add_f32_e32 v2, v2, v20
	v_add_f32_e32 v20, v101, v100
	v_fmamk_f32 v100, v55, 0x3f763a35, v28
	v_add_f32_e32 v21, v29, v21
	v_fmamk_f32 v101, v51, 0x3ee437d1, v83
	v_mul_f32_e32 v29, 0xbf763a35, v69
	v_add_f32_e32 v102, v3, v23
	v_mul_f32_e32 v23, 0x3dbcf732, v68
	v_add_f32_e32 v3, v100, v20
	v_add_f32_e32 v20, v101, v21
	v_fmamk_f32 v21, v53, 0xbe8c1d8e, v29
	v_mul_f32_e32 v100, 0xbf06c442, v50
	v_fmamk_f32 v101, v57, 0xbf7ee86f, v23
	v_add_f32_e32 v103, v2, v22
	v_mul_f32_e32 v2, 0x3f65296c, v44
	v_add_f32_e32 v20, v21, v20
	v_sub_f32_e32 v21, v77, v100
	v_mul_f32_e32 v77, 0xbf59a7d5, v35
	v_add_f32_e32 v3, v101, v3
	v_sub_f32_e32 v2, v88, v2
	v_mul_f32_e32 v88, 0xbf7ee86f, v46
	v_add_f32_e32 v21, v1, v21
	v_mul_f32_e32 v101, 0x3ee437d1, v43
	v_add_f32_e32 v74, v77, v74
	v_mul_f32_e32 v77, 0x3f4c4adb, v48
	v_mul_f32_e32 v22, 0x3f7ee86f, v67
	v_add_f32_e32 v2, v2, v21
	v_sub_f32_e32 v21, v91, v88
	v_add_f32_e32 v79, v101, v79
	v_add_f32_e32 v74, v0, v74
	v_mul_f32_e32 v88, 0x3dbcf732, v45
	v_mul_f32_e32 v91, 0xbe8c1d8e, v56
	v_add_f32_e32 v2, v21, v2
	v_sub_f32_e32 v21, v92, v77
	v_mul_f32_e32 v77, 0xbeb8f4ab, v52
	v_add_f32_e32 v74, v79, v74
	v_add_f32_e32 v79, v88, v89
	v_mul_f32_e32 v88, 0xbf1a4643, v47
	v_add_f32_e32 v2, v21, v2
	v_sub_f32_e32 v21, v97, v77
	v_mul_f32_e32 v77, 0xbe3c28d5, v54
	v_add_f32_e32 v74, v79, v74
	v_add_f32_e32 v79, v88, v87
	;; [unrolled: 6-line block ×3, first 2 shown]
	v_mul_f32_e32 v87, 0xbf7ba420, v51
	v_mul_f32_e32 v88, 0xbf1a4643, v62
	v_add_f32_e32 v2, v21, v2
	v_sub_f32_e32 v21, v99, v77
	v_add_f32_e32 v74, v79, v74
	v_add_f32_e32 v79, v87, v93
	v_mul_f32_e32 v87, 0x3f3d2fb0, v53
	v_fmamk_f32 v90, v50, 0x3f4c4adb, v88
	v_mul_f32_e32 v77, 0xbe8c1d8e, v63
	v_mul_f32_e32 v89, 0xbf763a35, v57
	v_add_f32_e32 v21, v21, v2
	v_add_f32_e32 v2, v79, v74
	;; [unrolled: 1-line block ×4, first 2 shown]
	v_fmamk_f32 v90, v44, 0xbf763a35, v77
	v_mul_f32_e32 v79, 0x3f6eb680, v64
	v_add_f32_e32 v16, v103, v16
	v_fmamk_f32 v100, v56, 0x3dbcf732, v22
	v_sub_f32_e32 v89, v96, v89
	v_add_f32_e32 v74, v74, v2
	v_add_f32_e32 v90, v90, v87
	v_fmamk_f32 v92, v46, 0x3eb8f4ab, v79
	v_mul_f32_e32 v87, 0xbf59a7d5, v65
	v_add_f32_e32 v91, v91, v95
	v_add_f32_e32 v17, v102, v17
	v_mul_f32_e32 v93, 0xbf4c4adb, v58
	v_add_f32_e32 v16, v16, v18
	v_add_f32_e32 v2, v100, v20
	;; [unrolled: 1-line block ×4, first 2 shown]
	v_fmamk_f32 v90, v48, 0x3f06c442, v87
	v_add_f32_e32 v20, v91, v74
	v_mul_f32_e32 v74, 0x3dbcf732, v70
	v_add_f32_e32 v19, v17, v19
	v_fmamk_f32 v18, v35, 0xbf1a4643, v93
	v_mul_f32_e32 v94, 0x3f763a35, v59
	v_add_f32_e32 v24, v16, v24
	v_add_f32_e32 v89, v90, v89
	v_fmamk_f32 v90, v52, 0xbf7ee86f, v74
	v_mul_f32_e32 v17, 0x3f3d2fb0, v73
	v_add_f32_e32 v19, v19, v25
	v_add_f32_e32 v18, v0, v18
	v_fmamk_f32 v25, v43, 0xbe8c1d8e, v94
	v_mul_f32_e32 v97, 0xbeb8f4ab, v60
	v_add_f32_e32 v24, v24, v26
	v_add_f32_e32 v89, v90, v89
	v_fmamk_f32 v90, v54, 0x3f2c7751, v17
	v_add_f32_e32 v19, v19, v27
	v_add_f32_e32 v18, v25, v18
	v_fmamk_f32 v25, v45, 0x3f6eb680, v97
	v_mul_f32_e32 v98, 0xbf06c442, v61
	v_add_f32_e32 v12, v24, v12
	v_add_f32_e32 v26, v90, v89
	v_mul_f32_e32 v90, 0x3f7ee86f, v66
	v_add_f32_e32 v18, v25, v18
	v_fmamk_f32 v25, v47, 0xbf59a7d5, v98
	v_add_f32_e32 v13, v19, v13
	v_add_f32_e32 v12, v12, v14
	v_mul_f32_e32 v16, 0xbf7ba420, v72
	v_fmamk_f32 v24, v49, 0x3dbcf732, v90
	v_add_f32_e32 v18, v25, v18
	v_add_f32_e32 v13, v13, v15
	v_mul_f32_e32 v91, 0xbf2c7751, v71
	v_mul_f32_e32 v96, 0xbe8c1d8e, v62
	v_add_f32_e32 v8, v12, v8
	v_fmamk_f32 v27, v55, 0x3e3c28d5, v16
	v_add_f32_e32 v14, v24, v18
	v_add_f32_e32 v9, v13, v9
	v_fmamk_f32 v12, v51, 0x3f3d2fb0, v91
	v_fmamk_f32 v13, v50, 0x3f763a35, v96
	v_mul_f32_e32 v95, 0xbf59a7d5, v63
	v_add_f32_e32 v8, v8, v10
	v_add_f32_e32 v19, v27, v26
	;; [unrolled: 1-line block ×5, first 2 shown]
	v_fmamk_f32 v12, v44, 0xbf06c442, v95
	v_add_f32_e32 v4, v8, v4
	v_mul_f32_e32 v27, 0x3f3d2fb0, v64
	v_mul_f32_e32 v104, 0xbf763a35, v58
	v_add_f32_e32 v5, v9, v5
	v_add_f32_e32 v8, v12, v11
	;; [unrolled: 1-line block ×3, first 2 shown]
	v_fmamk_f32 v4, v46, 0xbf2c7751, v27
	v_fmamk_f32 v9, v35, 0xbe8c1d8e, v104
	v_mul_f32_e32 v105, 0x3f06c442, v59
	v_mul_f32_e32 v26, 0xbe3c28d5, v69
	;; [unrolled: 1-line block ×3, first 2 shown]
	v_add_f32_e32 v4, v4, v8
	v_add_f32_e32 v8, v0, v9
	v_fmamk_f32 v9, v43, 0xbf59a7d5, v105
	v_mul_f32_e32 v107, 0x3f2c7751, v60
	v_fmamk_f32 v13, v53, 0xbf7ba420, v26
	v_mul_f32_e32 v24, 0x3f65296c, v67
	v_fmamk_f32 v12, v48, 0x3f65296c, v102
	v_mul_f32_e32 v106, 0xbf7ba420, v70
	v_add_f32_e32 v8, v9, v8
	v_fmamk_f32 v9, v45, 0x3f3d2fb0, v107
	v_mul_f32_e32 v108, 0xbf65296c, v61
	v_mul_f32_e32 v18, 0x3ee437d1, v68
	v_add_f32_e32 v10, v13, v10
	v_fmamk_f32 v11, v56, 0x3ee437d1, v24
	v_add_f32_e32 v12, v12, v4
	v_fmamk_f32 v13, v52, 0x3e3c28d5, v106
	v_mul_f32_e32 v99, 0x3dbcf732, v73
	v_add_f32_e32 v8, v9, v8
	v_fmamk_f32 v9, v47, 0x3ee437d1, v108
	v_mul_f32_e32 v101, 0xbe3c28d5, v66
	v_add_f32_e32 v7, v5, v7
	v_fmamk_f32 v5, v57, 0xbf65296c, v18
	v_add_f32_e32 v4, v11, v10
	v_add_f32_e32 v10, v13, v12
	v_fmamk_f32 v11, v54, 0xbf7ee86f, v99
	v_add_f32_e32 v8, v9, v8
	v_fmamk_f32 v9, v49, 0xbf7ba420, v101
	v_mul_f32_e32 v89, 0x3f7ee86f, v71
	v_mul_f32_e32 v25, 0x3f6eb680, v72
	v_add_f32_e32 v5, v5, v19
	v_add_f32_e32 v10, v11, v10
	;; [unrolled: 1-line block ×4, first 2 shown]
	v_fmamk_f32 v9, v51, 0x3dbcf732, v89
	v_mul_f32_e32 v41, 0xbeb8f4ab, v69
	v_fmamk_f32 v11, v55, 0x3eb8f4ab, v25
	v_mul_f32_e32 v19, 0xbf1a4643, v68
	v_mul_f32_e32 v115, 0x3dbcf732, v62
	v_add_f32_e32 v8, v9, v8
	v_fmamk_f32 v9, v53, 0x3f6eb680, v41
	v_add_f32_e32 v10, v11, v10
	v_fmamk_f32 v11, v57, 0x3f4c4adb, v19
	v_fmamk_f32 v12, v50, 0x3f7ee86f, v115
	v_mul_f32_e32 v103, 0xbf7ba420, v63
	v_add_f32_e32 v8, v9, v8
	v_mul_f32_e32 v113, 0xbe8c1d8e, v64
	v_add_f32_e32 v9, v11, v10
	v_add_f32_e32 v11, v1, v12
	v_fmamk_f32 v12, v44, 0x3e3c28d5, v103
	v_mul_f32_e32 v114, 0x3f6eb680, v65
	v_mul_f32_e32 v92, 0xbf4c4adb, v67
	;; [unrolled: 1-line block ×4, first 2 shown]
	v_add_f32_e32 v11, v12, v11
	v_fmamk_f32 v12, v46, 0xbf763a35, v113
	v_fmamk_f32 v10, v56, 0xbf1a4643, v92
	v_mul_f32_e32 v111, 0xbf59a7d5, v73
	v_mul_f32_e32 v119, 0xbe3c28d5, v59
	;; [unrolled: 1-line block ×3, first 2 shown]
	v_add_f32_e32 v11, v12, v11
	v_fmamk_f32 v12, v48, 0xbeb8f4ab, v114
	v_add_f32_e32 v8, v10, v8
	v_fmamk_f32 v10, v35, 0x3dbcf732, v118
	v_fmamk_f32 v13, v43, 0xbf7ba420, v119
	v_mul_f32_e32 v121, 0x3f763a35, v60
	v_add_f32_e32 v11, v12, v11
	v_fmamk_f32 v12, v52, 0x3f65296c, v116
	v_add_f32_e32 v10, v0, v10
	v_mul_f32_e32 v124, 0x3ee437d1, v62
	v_mul_f32_e32 v122, 0x3eb8f4ab, v61
	;; [unrolled: 1-line block ×3, first 2 shown]
	v_add_f32_e32 v11, v12, v11
	v_fmamk_f32 v12, v54, 0x3f06c442, v111
	v_add_f32_e32 v10, v13, v10
	v_fmamk_f32 v13, v45, 0xbe8c1d8e, v121
	v_mul_f32_e32 v123, 0xbf65296c, v66
	v_fmamk_f32 v14, v44, 0x3f4c4adb, v112
	v_add_f32_e32 v11, v12, v11
	v_fmamk_f32 v12, v55, 0xbf4c4adb, v100
	v_add_f32_e32 v10, v13, v10
	v_fmamk_f32 v13, v47, 0x3f6eb680, v122
	v_mul_f32_e32 v120, 0xbf7ba420, v64
	v_mul_f32_e32 v117, 0xbf06c442, v71
	v_add_f32_e32 v11, v12, v11
	v_fmamk_f32 v12, v50, 0x3f65296c, v124
	v_add_f32_e32 v10, v13, v10
	v_fmamk_f32 v13, v49, 0x3ee437d1, v123
	v_mul_f32_e32 v129, 0xbe8c1d8e, v65
	v_mul_f32_e32 v109, 0x3f4c4adb, v69
	v_add_f32_e32 v12, v1, v12
	v_mul_f32_e32 v131, 0x3f3d2fb0, v70
	v_add_f32_e32 v10, v13, v10
	v_fmamk_f32 v13, v51, 0xbf59a7d5, v117
	v_add_f32_e32 v6, v6, v40
	v_add_f32_e32 v12, v14, v12
	v_fmamk_f32 v14, v46, 0xbe3c28d5, v120
	v_mul_f32_e32 v40, 0x3f3d2fb0, v68
	v_add_f32_e32 v10, v13, v10
	v_fmamk_f32 v13, v53, 0xbf1a4643, v109
	v_mul_f32_e32 v125, 0xbf65296c, v58
	v_add_f32_e32 v12, v14, v12
	v_fmamk_f32 v14, v48, 0xbf763a35, v129
	v_mul_f32_e32 v133, 0x3f6eb680, v73
	v_add_f32_e32 v10, v13, v10
	v_fmamk_f32 v13, v57, 0xbf2c7751, v40
	v_fmamk_f32 v15, v35, 0x3ee437d1, v125
	v_add_f32_e32 v12, v14, v12
	v_fmamk_f32 v14, v52, 0xbf2c7751, v131
	v_mul_f32_e32 v126, 0xbf4c4adb, v59
	v_mul_f32_e32 v110, 0x3f2c7751, v67
	;; [unrolled: 1-line block ×3, first 2 shown]
	v_add_f32_e32 v15, v0, v15
	v_add_f32_e32 v12, v14, v12
	v_fmamk_f32 v14, v54, 0x3eb8f4ab, v133
	v_fmamk_f32 v127, v43, 0xbf1a4643, v126
	v_mul_f32_e32 v128, 0x3e3c28d5, v60
	v_add_f32_e32 v11, v13, v11
	v_fmamk_f32 v13, v56, 0x3f3d2fb0, v110
	v_add_f32_e32 v12, v14, v12
	v_fmamk_f32 v14, v55, 0x3f7ee86f, v135
	v_mul_f32_e32 v137, 0xbf59a7d5, v68
	v_add_f32_e32 v15, v127, v15
	v_fmamk_f32 v127, v45, 0xbf7ba420, v128
	v_mul_f32_e32 v130, 0x3f763a35, v61
	v_add_f32_e32 v10, v13, v10
	v_add_f32_e32 v12, v14, v12
	v_fmamk_f32 v13, v57, 0x3f06c442, v137
	v_mul_f32_e32 v138, 0x3f3d2fb0, v62
	v_mul_f32_e32 v139, 0xbf2c7751, v58
	v_add_f32_e32 v15, v127, v15
	v_fmamk_f32 v127, v47, 0xbe8c1d8e, v130
	v_mul_f32_e32 v132, 0x3f2c7751, v66
	v_add_f32_e32 v13, v13, v12
	v_fmamk_f32 v12, v50, 0x3f2c7751, v138
	v_mul_f32_e32 v140, 0x3dbcf732, v63
	v_fmamk_f32 v141, v35, 0x3f3d2fb0, v139
	v_mul_f32_e32 v142, 0xbf7ee86f, v59
	v_add_f32_e32 v15, v127, v15
	v_fmamk_f32 v127, v49, 0x3f3d2fb0, v132
	v_mul_f32_e32 v134, 0xbeb8f4ab, v71
	v_add_f32_e32 v12, v1, v12
	;; [unrolled: 3-line block ×7, first 2 shown]
	v_fmamk_f32 v127, v53, 0x3dbcf732, v136
	v_add_f32_e32 v12, v143, v12
	v_fmamk_f32 v143, v48, 0x3e3c28d5, v147
	v_mul_f32_e32 v149, 0xbf59a7d5, v70
	v_add_f32_e32 v141, v145, v141
	v_fmamk_f32 v145, v47, 0xbf7ba420, v148
	v_mul_f32_e32 v150, 0x3f06c442, v66
	v_add_f32_e32 v14, v127, v15
	v_mul_f32_e32 v127, 0xbf06c442, v67
	v_add_f32_e32 v12, v143, v12
	v_fmamk_f32 v143, v52, 0xbf06c442, v149
	v_mul_f32_e32 v151, 0xbe8c1d8e, v73
	v_add_f32_e32 v141, v145, v141
	v_fmamk_f32 v145, v49, 0xbf59a7d5, v150
	v_mul_f32_e32 v152, 0x3f763a35, v71
	v_fmamk_f32 v15, v56, 0xbf59a7d5, v127
	v_add_f32_e32 v143, v143, v12
	v_fmamk_f32 v153, v54, 0xbf763a35, v151
	v_mul_f32_e32 v154, 0x3ee437d1, v72
	v_add_f32_e32 v141, v145, v141
	v_fmamk_f32 v145, v51, 0xbe8c1d8e, v152
	v_mul_f32_e32 v155, 0x3f65296c, v69
	v_add_f32_e32 v12, v15, v14
	v_add_f32_e32 v14, v153, v143
	v_fmamk_f32 v15, v55, 0xbf65296c, v154
	v_add_f32_e32 v141, v145, v141
	v_fmamk_f32 v143, v53, 0x3ee437d1, v155
	v_mul_f32_e32 v145, 0x3f6eb680, v68
	v_mul_f32_e32 v153, 0x3eb8f4ab, v67
	;; [unrolled: 1-line block ×3, first 2 shown]
	v_add_f32_e32 v14, v15, v14
	v_add_f32_e32 v141, v143, v141
	v_fmamk_f32 v15, v57, 0xbeb8f4ab, v145
	v_fmamk_f32 v143, v56, 0x3f6eb680, v153
	;; [unrolled: 1-line block ×3, first 2 shown]
	v_mul_f32_e32 v63, 0x3f3d2fb0, v63
	v_mul_f32_e32 v64, 0x3ee437d1, v64
	v_add_f32_e32 v15, v15, v14
	v_add_f32_e32 v14, v143, v141
	;; [unrolled: 1-line block ×3, first 2 shown]
	v_fmamk_f32 v143, v44, 0x3f2c7751, v63
	v_mul_f32_e32 v65, 0x3dbcf732, v65
	v_mul_f32_e32 v70, 0xbe8c1d8e, v70
	;; [unrolled: 1-line block ×4, first 2 shown]
	v_add_f32_e32 v141, v143, v141
	v_fmamk_f32 v143, v46, 0x3f65296c, v64
	v_mul_f32_e32 v157, 0xbf2c7751, v59
	v_mul_f32_e32 v60, 0xbf65296c, v60
	;; [unrolled: 1-line block ×4, first 2 shown]
	v_add_f32_e32 v141, v143, v141
	v_fmamk_f32 v143, v48, 0x3f7ee86f, v65
	v_mul_f32_e32 v71, 0xbf4c4adb, v71
	v_fmac_f32_e32 v80, 0xbe3c28d5, v50
	v_fmac_f32_e32 v76, 0x3eb8f4ab, v44
	v_mul_f32_e32 v69, 0xbf06c442, v69
	v_add_f32_e32 v141, v143, v141
	v_fmamk_f32 v143, v52, 0x3f763a35, v70
	v_add_f32_e32 v80, v1, v80
	v_fma_f32 v78, 0xbf7ba420, v35, -v78
	v_fmac_f32_e32 v75, 0xbf06c442, v46
	v_fma_f32 v82, 0x3f6eb680, v43, -v82
	v_add_f32_e32 v58, v143, v141
	v_fmamk_f32 v141, v54, 0x3f4c4adb, v73
	v_fmamk_f32 v143, v35, 0x3f6eb680, v156
	v_add_f32_e32 v76, v76, v80
	v_fmamk_f32 v80, v53, 0xbf59a7d5, v69
	v_add_f32_e32 v78, v0, v78
	v_add_f32_e32 v58, v141, v58
	;; [unrolled: 1-line block ×3, first 2 shown]
	v_fmamk_f32 v141, v43, 0x3f3d2fb0, v157
	v_mul_f32_e32 v72, 0xbf59a7d5, v72
	v_fmac_f32_e32 v30, 0x3f2c7751, v48
	v_mul_f32_e32 v68, 0xbf7ba420, v68
	v_mul_f32_e32 v67, 0xbe3c28d5, v67
	v_add_f32_e32 v59, v141, v59
	v_fmamk_f32 v141, v45, 0x3ee437d1, v60
	v_fmac_f32_e32 v81, 0xbf4c4adb, v52
	v_fmac_f32_e32 v31, 0x3f65296c, v54
	;; [unrolled: 1-line block ×4, first 2 shown]
	v_add_f32_e32 v59, v141, v59
	v_fmamk_f32 v141, v47, 0x3dbcf732, v61
	v_fmac_f32_e32 v28, 0xbf763a35, v55
	v_fma_f32 v29, 0xbe8c1d8e, v53, -v29
	v_fmac_f32_e32 v79, 0xbeb8f4ab, v46
	v_fmac_f32_e32 v87, 0xbf06c442, v48
	v_add_f32_e32 v59, v141, v59
	v_fmamk_f32 v141, v49, 0xbe8c1d8e, v66
	v_fmac_f32_e32 v23, 0x3f7ee86f, v57
	v_fmac_f32_e32 v74, 0x3f7ee86f, v52
	v_fmac_f32_e32 v96, 0xbf763a35, v50
	v_fma_f32 v22, 0x3dbcf732, v56, -v22
	v_add_f32_e32 v59, v141, v59
	v_fmamk_f32 v141, v51, 0xbf1a4643, v71
	v_fmac_f32_e32 v17, 0xbf2c7751, v54
	v_fmac_f32_e32 v95, 0x3f06c442, v44
	;; [unrolled: 1-line block ×4, first 2 shown]
	v_add_f32_e32 v59, v141, v59
	v_fmamk_f32 v141, v55, 0x3f06c442, v72
	v_fma_f32 v26, 0xbf7ba420, v53, -v26
	v_fmac_f32_e32 v102, 0xbf65296c, v48
	v_fmac_f32_e32 v106, 0xbe3c28d5, v52
	v_add_f32_e32 v80, v80, v59
	v_add_f32_e32 v59, v75, v76
	;; [unrolled: 1-line block ×3, first 2 shown]
	v_fma_f32 v76, 0xbf59a7d5, v45, -v84
	v_add_f32_e32 v58, v141, v58
	v_fmamk_f32 v78, v56, 0xbf7ba420, v67
	v_add_f32_e32 v30, v30, v59
	v_fmac_f32_e32 v18, 0x3f65296c, v57
	v_add_f32_e32 v59, v76, v75
	v_fma_f32 v75, 0x3f3d2fb0, v47, -v85
	v_fmamk_f32 v76, v57, 0x3e3c28d5, v68
	v_add_f32_e32 v30, v81, v30
	v_fma_f32 v81, 0xbf1a4643, v49, -v86
	v_fma_f32 v24, 0x3ee437d1, v56, -v24
	v_add_f32_e32 v75, v75, v59
	v_add_f32_e32 v59, v76, v58
	;; [unrolled: 1-line block ×6, first 2 shown]
	v_fma_f32 v75, 0x3ee437d1, v51, -v83
	v_fma_f32 v78, 0xbf1a4643, v35, -v93
	v_add_f32_e32 v28, v28, v30
	v_fmac_f32_e32 v99, 0x3f7ee86f, v54
	v_fmac_f32_e32 v115, 0xbf7ee86f, v50
	v_add_f32_e32 v31, v75, v31
	v_add_f32_e32 v75, v77, v76
	v_add_f32_e32 v76, v0, v78
	v_fma_f32 v77, 0xbe8c1d8e, v43, -v94
	v_add_f32_e32 v23, v23, v28
	v_add_f32_e32 v29, v29, v31
	;; [unrolled: 1-line block ×3, first 2 shown]
	v_fma_f32 v75, 0x3f6eb680, v45, -v97
	v_add_f32_e32 v31, v77, v76
	v_fmac_f32_e32 v103, 0xbe3c28d5, v44
	v_add_f32_e32 v22, v22, v29
	v_add_f32_e32 v30, v87, v30
	v_fma_f32 v29, 0x3f3d2fb0, v51, -v91
	v_add_f32_e32 v31, v75, v31
	v_fma_f32 v75, 0xbf59a7d5, v47, -v98
	v_fmac_f32_e32 v25, 0xbeb8f4ab, v55
	v_add_f32_e32 v28, v74, v30
	v_add_f32_e32 v74, v1, v96
	v_fmac_f32_e32 v113, 0x3f763a35, v46
	v_add_f32_e32 v30, v75, v31
	v_fma_f32 v31, 0x3dbcf732, v49, -v90
	v_add_f32_e32 v17, v17, v28
	v_fmac_f32_e32 v114, 0x3eb8f4ab, v48
	v_fmac_f32_e32 v19, 0xbf4c4adb, v57
	;; [unrolled: 1-line block ×3, first 2 shown]
	v_add_f32_e32 v28, v31, v30
	v_add_f32_e32 v30, v95, v74
	v_fma_f32 v31, 0xbe8c1d8e, v35, -v104
	v_add_f32_e32 v16, v16, v17
	v_fmac_f32_e32 v112, 0xbf4c4adb, v44
	v_add_f32_e32 v28, v29, v28
	v_add_f32_e32 v27, v27, v30
	;; [unrolled: 1-line block ×3, first 2 shown]
	v_fma_f32 v30, 0xbf59a7d5, v43, -v105
	v_fmac_f32_e32 v138, 0xbf2c7751, v50
	v_add_f32_e32 v26, v26, v28
	v_add_f32_e32 v17, v102, v27
	v_fma_f32 v28, 0x3f3d2fb0, v45, -v107
	v_add_f32_e32 v27, v30, v29
	v_add_f32_e32 v30, v1, v138
	v_fmac_f32_e32 v140, 0xbf7ee86f, v44
	v_add_f32_e32 v29, v106, v17
	v_add_f32_e32 v17, v18, v16
	v_add_f32_e32 v27, v28, v27
	v_fma_f32 v28, 0x3ee437d1, v47, -v108
	v_add_f32_e32 v16, v24, v26
	v_fma_f32 v26, 0xbf7ba420, v49, -v101
	v_add_f32_e32 v18, v99, v29
	;; [unrolled: 2-line block ×4, first 2 shown]
	v_add_f32_e32 v18, v25, v18
	v_add_f32_e32 v30, v140, v30
	v_add_f32_e32 v24, v26, v24
	v_fma_f32 v26, 0x3dbcf732, v51, -v89
	v_add_f32_e32 v28, v0, v28
	v_add_f32_e32 v27, v103, v27
	;; [unrolled: 1-line block ×3, first 2 shown]
	v_fmac_f32_e32 v144, 0xbf4c4adb, v46
	v_add_f32_e32 v24, v26, v24
	v_fma_f32 v26, 0x3f6eb680, v53, -v41
	v_add_f32_e32 v28, v29, v28
	v_fma_f32 v29, 0xbe8c1d8e, v45, -v121
	;; [unrolled: 2-line block ×3, first 2 shown]
	v_add_f32_e32 v24, v26, v24
	v_fmac_f32_e32 v62, 0xbeb8f4ab, v50
	v_add_f32_e32 v26, v29, v28
	v_fma_f32 v28, 0xbf1a4643, v56, -v92
	v_add_f32_e32 v25, v114, v27
	v_fma_f32 v27, 0x3f6eb680, v47, -v122
	v_add_f32_e32 v29, v1, v124
	v_add_f32_e32 v1, v1, v62
	;; [unrolled: 1-line block ×3, first 2 shown]
	v_fma_f32 v24, 0x3ee437d1, v35, -v125
	v_add_f32_e32 v26, v27, v26
	v_fma_f32 v27, 0x3ee437d1, v49, -v123
	v_fma_f32 v28, 0xbf1a4643, v43, -v126
	v_fmac_f32_e32 v63, 0xbf2c7751, v44
	v_add_f32_e32 v24, v0, v24
	v_fmac_f32_e32 v120, 0x3e3c28d5, v46
	v_add_f32_e32 v26, v27, v26
	v_fma_f32 v27, 0xbf59a7d5, v51, -v117
	v_add_f32_e32 v1, v63, v1
	v_add_f32_e32 v24, v28, v24
	v_fma_f32 v28, 0xbf7ba420, v45, -v128
	v_fmac_f32_e32 v64, 0xbf65296c, v46
	v_add_f32_e32 v26, v27, v26
	v_add_f32_e32 v27, v112, v29
	v_fma_f32 v29, 0xbf1a4643, v53, -v109
	v_add_f32_e32 v24, v28, v24
	v_fma_f32 v28, 0xbe8c1d8e, v47, -v130
	v_fmac_f32_e32 v116, 0xbf65296c, v52
	v_add_f32_e32 v27, v120, v27
	v_add_f32_e32 v26, v29, v26
	v_fma_f32 v29, 0x3f3d2fb0, v49, -v132
	v_add_f32_e32 v24, v28, v24
	v_add_f32_e32 v28, v144, v30
	v_fma_f32 v30, 0x3f3d2fb0, v56, -v110
	v_fmac_f32_e32 v129, 0x3f763a35, v48
	v_fmac_f32_e32 v147, 0xbe3c28d5, v48
	v_add_f32_e32 v24, v29, v24
	v_fma_f32 v29, 0x3f6eb680, v51, -v134
	v_add_f32_e32 v1, v64, v1
	v_fmac_f32_e32 v65, 0xbf7ee86f, v48
	v_add_f32_e32 v25, v116, v25
	v_fmac_f32_e32 v111, 0xbf06c442, v54
	v_add_f32_e32 v24, v29, v24
	v_fma_f32 v29, 0x3dbcf732, v53, -v136
	v_add_f32_e32 v27, v129, v27
	v_fmac_f32_e32 v131, 0x3f2c7751, v52
	v_add_f32_e32 v28, v147, v28
	v_fmac_f32_e32 v149, 0x3f06c442, v52
	v_add_f32_e32 v29, v29, v24
	v_add_f32_e32 v24, v30, v26
	v_fma_f32 v30, 0x3f6eb680, v35, -v156
	v_add_f32_e32 v1, v65, v1
	v_fmac_f32_e32 v70, 0xbf763a35, v52
	v_add_f32_e32 v26, v31, v29
	v_fma_f32 v29, 0x3f3d2fb0, v35, -v139
	v_fma_f32 v31, 0x3dbcf732, v43, -v142
	v_add_f32_e32 v25, v111, v25
	v_fmac_f32_e32 v100, 0x3f4c4adb, v55
	v_add_f32_e32 v27, v131, v27
	v_add_f32_e32 v29, v0, v29
	;; [unrolled: 1-line block ×3, first 2 shown]
	v_fma_f32 v30, 0x3f3d2fb0, v43, -v157
	v_fmac_f32_e32 v133, 0xbeb8f4ab, v54
	v_add_f32_e32 v28, v149, v28
	v_add_f32_e32 v29, v31, v29
	v_fma_f32 v31, 0xbf1a4643, v45, -v146
	v_add_f32_e32 v0, v30, v0
	v_fma_f32 v30, 0x3ee437d1, v45, -v60
	v_fmac_f32_e32 v151, 0x3f763a35, v54
	v_add_f32_e32 v1, v70, v1
	v_add_f32_e32 v29, v31, v29
	v_fma_f32 v31, 0xbf7ba420, v47, -v148
	v_add_f32_e32 v0, v30, v0
	v_fma_f32 v30, 0x3dbcf732, v47, -v61
	v_fmac_f32_e32 v73, 0xbf4c4adb, v54
	v_add_f32_e32 v25, v100, v25
	v_add_f32_e32 v29, v31, v29
	v_fma_f32 v31, 0xbf59a7d5, v49, -v150
	v_add_f32_e32 v0, v30, v0
	v_fma_f32 v30, 0xbe8c1d8e, v49, -v66
	v_fmac_f32_e32 v40, 0x3f2c7751, v57
	v_add_f32_e32 v27, v133, v27
	v_add_f32_e32 v29, v31, v29
	v_fma_f32 v31, 0xbe8c1d8e, v51, -v152
	v_add_f32_e32 v0, v30, v0
	v_fma_f32 v30, 0xbf1a4643, v51, -v71
	v_fmac_f32_e32 v135, 0xbf7ee86f, v55
	v_add_f32_e32 v28, v151, v28
	v_fmac_f32_e32 v154, 0x3f65296c, v55
	v_add_f32_e32 v29, v31, v29
	v_fma_f32 v31, 0x3ee437d1, v53, -v155
	v_add_f32_e32 v1, v73, v1
	v_fmac_f32_e32 v72, 0xbf06c442, v55
	v_add_f32_e32 v0, v30, v0
	v_fma_f32 v30, 0xbf59a7d5, v53, -v69
	v_add_f32_e32 v25, v40, v25
	v_add_f32_e32 v27, v135, v27
	v_fmac_f32_e32 v137, 0xbf06c442, v57
	v_add_f32_e32 v28, v154, v28
	v_fmac_f32_e32 v145, 0x3eb8f4ab, v57
	v_add_f32_e32 v29, v31, v29
	v_fma_f32 v31, 0x3f6eb680, v56, -v153
	v_add_f32_e32 v35, v72, v1
	v_fmac_f32_e32 v68, 0xbe3c28d5, v57
	v_add_f32_e32 v30, v30, v0
	v_fma_f32 v40, 0xbf7ba420, v56, -v67
	v_lshl_add_u32 v41, v34, 7, v42
	v_add_f32_e32 v27, v137, v27
	v_add_f32_e32 v1, v145, v28
	;; [unrolled: 1-line block ×5, first 2 shown]
	ds_write2_b64 v41, v[6:7], v[58:59] offset1:1
	ds_write2_b64 v41, v[14:15], v[12:13] offset0:2 offset1:3
	ds_write2_b64 v41, v[10:11], v[8:9] offset0:4 offset1:5
	;; [unrolled: 1-line block ×7, first 2 shown]
	ds_write_b64 v41, v[28:29] offset:128
.LBB0_15:
	s_or_b32 exec_lo, exec_lo, s1
	v_and_b32_e32 v0, 0xff, v34
	v_mov_b32_e32 v1, 9
	s_load_dwordx2 s[2:3], s[2:3], 0x0
	s_waitcnt lgkmcnt(0)
	s_barrier
	v_mul_lo_u16 v0, 0xf1, v0
	buffer_gl0_inv
	v_add_nc_u32_e32 v20, 0xa00, v42
	v_add_nc_u32_e32 v24, 0x1600, v42
	;; [unrolled: 1-line block ×3, first 2 shown]
	v_lshrrev_b16 v35, 12, v0
	v_mov_b32_e32 v44, 0x550
	v_mov_b32_e32 v45, 3
	v_add_nc_u32_e32 v46, 0x2e00, v42
	v_cmp_gt_u32_e64 s0, 0xaa, v34
	v_mul_lo_u16 v0, v35, 17
	v_mul_u32_u24_sdwa v35, v35, v44 dst_sel:DWORD dst_unused:UNUSED_PAD src0_sel:WORD_0 src1_sel:DWORD
	v_sub_nc_u16 v43, v34, v0
	v_mul_u32_u24_sdwa v0, v43, v1 dst_sel:DWORD dst_unused:UNUSED_PAD src0_sel:BYTE_0 src1_sel:DWORD
	v_lshlrev_b32_sdwa v47, v45, v43 dst_sel:DWORD dst_unused:UNUSED_PAD src0_sel:DWORD src1_sel:BYTE_0
	v_lshlrev_b32_e32 v16, 3, v0
	v_add3_u32 v35, 0, v35, v47
	s_clause 0x4
	global_load_dwordx4 v[0:3], v16, s[12:13]
	global_load_dwordx4 v[4:7], v16, s[12:13] offset:16
	global_load_dwordx4 v[8:11], v16, s[12:13] offset:32
	;; [unrolled: 1-line block ×3, first 2 shown]
	global_load_dwordx2 v[40:41], v16, s[12:13] offset:64
	ds_read2_b64 v[16:19], v42 offset1:187
	ds_read2_b64 v[20:23], v20 offset0:54 offset1:241
	ds_read2_b64 v[24:27], v24 offset0:44 offset1:231
	;; [unrolled: 1-line block ×4, first 2 shown]
	s_waitcnt vmcnt(0) lgkmcnt(0)
	s_barrier
	buffer_gl0_inv
	v_mul_f32_e32 v47, v1, v19
	v_mul_f32_e32 v1, v1, v18
	;; [unrolled: 1-line block ×18, first 2 shown]
	v_fmac_f32_e32 v47, v0, v18
	v_fma_f32 v18, v0, v19, -v1
	v_fmac_f32_e32 v48, v2, v20
	v_fma_f32 v0, v2, v21, -v3
	;; [unrolled: 2-line block ×4, first 2 shown]
	v_fma_f32 v3, v8, v27, -v9
	v_fmac_f32_e32 v52, v28, v10
	v_fma_f32 v4, v29, v10, -v11
	v_fma_f32 v5, v31, v12, -v13
	v_fmac_f32_e32 v54, v43, v14
	v_fma_f32 v6, v44, v14, -v15
	v_fma_f32 v7, v46, v40, -v41
	v_fmac_f32_e32 v51, v8, v26
	v_fmac_f32_e32 v53, v30, v12
	;; [unrolled: 1-line block ×3, first 2 shown]
	v_add_f32_e32 v8, v16, v48
	v_add_f32_e32 v9, v50, v52
	v_sub_f32_e32 v12, v48, v50
	v_sub_f32_e32 v13, v54, v52
	v_add_f32_e32 v14, v48, v54
	v_sub_f32_e32 v15, v50, v48
	v_sub_f32_e32 v22, v48, v54
	;; [unrolled: 1-line block ×4, first 2 shown]
	v_add_f32_e32 v46, v18, v1
	v_add_f32_e32 v48, v3, v5
	;; [unrolled: 1-line block ×3, first 2 shown]
	v_sub_f32_e32 v19, v52, v54
	v_add_f32_e32 v20, v17, v0
	v_add_f32_e32 v21, v2, v4
	v_sub_f32_e32 v23, v50, v52
	v_add_f32_e32 v28, v47, v49
	v_add_f32_e32 v29, v51, v53
	v_sub_f32_e32 v30, v1, v7
	v_sub_f32_e32 v31, v3, v5
	;; [unrolled: 1-line block ×4, first 2 shown]
	v_add_f32_e32 v43, v49, v55
	v_sub_f32_e32 v44, v51, v49
	v_sub_f32_e32 v49, v49, v55
	;; [unrolled: 1-line block ×5, first 2 shown]
	v_add_f32_e32 v8, v8, v50
	v_fma_f32 v50, -0.5, v9, v16
	v_add_f32_e32 v9, v12, v13
	v_fma_f32 v13, -0.5, v14, v16
	v_add_f32_e32 v14, v24, v25
	v_add_f32_e32 v3, v46, v3
	v_fma_f32 v24, -0.5, v48, v18
	v_fmac_f32_e32 v18, -0.5, v59
	v_sub_f32_e32 v10, v0, v6
	v_sub_f32_e32 v11, v2, v4
	v_add_f32_e32 v26, v0, v6
	v_sub_f32_e32 v0, v2, v0
	v_sub_f32_e32 v27, v4, v6
	v_sub_f32_e32 v58, v7, v5
	v_sub_f32_e32 v60, v5, v7
	v_add_f32_e32 v12, v15, v19
	v_add_f32_e32 v2, v20, v2
	v_fma_f32 v19, -0.5, v21, v17
	v_add_f32_e32 v15, v28, v51
	v_fma_f32 v16, -0.5, v29, v47
	v_add_f32_e32 v20, v40, v41
	v_fmac_f32_e32 v47, -0.5, v43
	v_add_f32_e32 v3, v3, v5
	v_fmamk_f32 v5, v49, 0x3f737871, v24
	v_fmac_f32_e32 v24, 0xbf737871, v49
	v_fmamk_f32 v41, v56, 0xbf737871, v18
	v_fmac_f32_e32 v18, 0x3f737871, v56
	v_sub_f32_e32 v45, v53, v55
	v_fma_f32 v17, -0.5, v26, v17
	v_add_f32_e32 v0, v0, v27
	v_add_f32_e32 v25, v57, v58
	;; [unrolled: 1-line block ×3, first 2 shown]
	v_fmamk_f32 v27, v11, 0x3f737871, v13
	v_fmac_f32_e32 v13, 0xbf737871, v11
	v_add_f32_e32 v2, v2, v4
	v_fmamk_f32 v28, v22, 0x3f737871, v19
	v_fmac_f32_e32 v19, 0xbf737871, v22
	v_add_f32_e32 v4, v15, v53
	v_fmamk_f32 v15, v30, 0xbf737871, v16
	v_fmac_f32_e32 v16, 0x3f737871, v30
	v_fmamk_f32 v40, v31, 0x3f737871, v47
	v_fmac_f32_e32 v47, 0xbf737871, v31
	v_fmac_f32_e32 v5, 0x3f167918, v56
	;; [unrolled: 1-line block ×5, first 2 shown]
	v_add_f32_e32 v21, v44, v45
	v_fmamk_f32 v26, v10, 0xbf737871, v50
	v_fmac_f32_e32 v50, 0x3f737871, v10
	v_fmamk_f32 v29, v23, 0xbf737871, v17
	v_fmac_f32_e32 v17, 0x3f737871, v23
	v_fmac_f32_e32 v27, 0xbf167918, v10
	v_fmac_f32_e32 v13, 0x3f167918, v10
	v_fmac_f32_e32 v28, 0x3f167918, v23
	v_fmac_f32_e32 v19, 0xbf167918, v23
	v_fmac_f32_e32 v15, 0xbf167918, v31
	v_fmac_f32_e32 v16, 0x3f167918, v31
	v_fmac_f32_e32 v40, 0xbf167918, v30
	v_fmac_f32_e32 v47, 0x3f167918, v30
	v_fmac_f32_e32 v5, 0x3e9e377a, v25
	v_fmac_f32_e32 v24, 0x3e9e377a, v25
	v_fmac_f32_e32 v41, 0x3e9e377a, v1
	v_fmac_f32_e32 v18, 0x3e9e377a, v1
	v_add_f32_e32 v8, v8, v52
	v_fmac_f32_e32 v26, 0xbf167918, v11
	v_fmac_f32_e32 v50, 0x3f167918, v11
	;; [unrolled: 1-line block ×12, first 2 shown]
	v_mul_f32_e32 v12, 0xbf167918, v5
	v_mul_f32_e32 v14, 0xbf737871, v41
	v_mul_f32_e32 v20, 0xbf737871, v18
	v_mul_f32_e32 v21, 0xbf167918, v24
	v_mul_f32_e32 v22, 0x3f4f1bbd, v5
	v_mul_f32_e32 v23, 0x3e9e377a, v41
	v_mul_f32_e32 v25, 0xbe9e377a, v18
	v_mul_f32_e32 v24, 0xbf4f1bbd, v24
	v_add_f32_e32 v8, v8, v54
	v_add_f32_e32 v2, v2, v6
	v_add_f32_e32 v4, v4, v55
	v_add_f32_e32 v3, v3, v7
	v_fmac_f32_e32 v26, 0x3e9e377a, v9
	v_fmac_f32_e32 v50, 0x3e9e377a, v9
	;; [unrolled: 1-line block ×12, first 2 shown]
	v_add_f32_e32 v0, v8, v4
	v_add_f32_e32 v1, v2, v3
	v_sub_f32_e32 v6, v8, v4
	v_sub_f32_e32 v7, v2, v3
	v_add_f32_e32 v2, v26, v12
	v_add_f32_e32 v8, v27, v14
	;; [unrolled: 1-line block ×8, first 2 shown]
	v_sub_f32_e32 v12, v26, v12
	v_sub_f32_e32 v14, v27, v14
	;; [unrolled: 1-line block ×8, first 2 shown]
	ds_write2_b64 v35, v[0:1], v[2:3] offset1:17
	ds_write2_b64 v35, v[8:9], v[10:11] offset0:34 offset1:51
	ds_write2_b64 v35, v[4:5], v[6:7] offset0:68 offset1:85
	;; [unrolled: 1-line block ×4, first 2 shown]
	s_waitcnt lgkmcnt(0)
	s_barrier
	buffer_gl0_inv
	s_and_saveexec_b32 s1, s0
	s_cbranch_execz .LBB0_17
; %bb.16:
	v_add_nc_u32_e32 v4, 0x800, v42
	v_add_nc_u32_e32 v5, 0x1400, v42
	;; [unrolled: 1-line block ×4, first 2 shown]
	ds_read2_b64 v[0:3], v42 offset1:170
	ds_read2_b64 v[8:11], v4 offset0:84 offset1:254
	ds_read2_b64 v[4:7], v5 offset0:40 offset1:210
	;; [unrolled: 1-line block ×4, first 2 shown]
	ds_read_b64 v[38:39], v42 offset:13600
.LBB0_17:
	s_or_b32 exec_lo, exec_lo, s1
	s_waitcnt lgkmcnt(0)
	s_barrier
	buffer_gl0_inv
	s_and_saveexec_b32 s1, s0
	s_cbranch_execz .LBB0_19
; %bb.18:
	v_add_nc_u32_e32 v20, 0xffffff56, v34
	v_mov_b32_e32 v21, 0
	v_add_nc_u32_e32 v35, 0x800, v42
	v_add_nc_u32_e32 v51, 0x2800, v42
	v_cndmask_b32_e64 v20, v20, v34, s0
	v_mul_i32_i24_e32 v20, 10, v20
	v_lshlrev_b64 v[20:21], 3, v[20:21]
	v_add_co_u32 v40, s0, s12, v20
	v_add_co_ci_u32_e64 v41, s0, s13, v21, s0
	s_clause 0x4
	global_load_dwordx4 v[20:23], v[40:41], off offset:1224
	global_load_dwordx4 v[24:27], v[40:41], off offset:1288
	;; [unrolled: 1-line block ×5, first 2 shown]
	v_add_nc_u32_e32 v40, 0x1400, v42
	v_add_nc_u32_e32 v41, 0x1e00, v42
	s_waitcnt vmcnt(4)
	v_mul_f32_e32 v52, v3, v21
	s_waitcnt vmcnt(3)
	v_mul_f32_e32 v53, v39, v27
	v_mul_f32_e32 v27, v38, v27
	v_mul_f32_e32 v21, v2, v21
	v_mul_f32_e32 v54, v9, v23
	v_mul_f32_e32 v55, v19, v25
	v_mul_f32_e32 v25, v18, v25
	v_mul_f32_e32 v23, v8, v23
	s_waitcnt vmcnt(2)
	v_mul_f32_e32 v56, v11, v29
	s_waitcnt vmcnt(1)
	v_mul_f32_e32 v57, v17, v46
	v_mul_f32_e32 v46, v16, v46
	;; [unrolled: 1-line block ×7, first 2 shown]
	s_waitcnt vmcnt(0)
	v_mul_f32_e32 v60, v7, v48
	v_mul_f32_e32 v61, v13, v50
	;; [unrolled: 1-line block ×4, first 2 shown]
	v_fmac_f32_e32 v52, v2, v20
	v_fmac_f32_e32 v53, v38, v26
	v_fma_f32 v26, v39, v26, -v27
	v_fma_f32 v2, v3, v20, -v21
	v_fmac_f32_e32 v54, v8, v22
	v_fmac_f32_e32 v55, v18, v24
	v_fma_f32 v18, v19, v24, -v25
	v_fma_f32 v3, v9, v22, -v23
	;; [unrolled: 4-line block ×5, first 2 shown]
	v_sub_f32_e32 v9, v52, v53
	v_add_f32_e32 v10, v2, v26
	v_sub_f32_e32 v22, v2, v26
	v_add_f32_e32 v2, v1, v2
	v_add_f32_e32 v38, v0, v52
	v_sub_f32_e32 v11, v54, v55
	v_add_f32_e32 v12, v3, v18
	v_sub_f32_e32 v13, v56, v57
	;; [unrolled: 2-line block ×4, first 2 shown]
	v_add_f32_e32 v20, v7, v6
	v_add_f32_e32 v21, v52, v53
	v_sub_f32_e32 v24, v3, v18
	v_sub_f32_e32 v27, v8, v16
	;; [unrolled: 1-line block ×4, first 2 shown]
	v_mul_f32_e32 v39, 0xbf7d64f0, v9
	v_mul_f32_e32 v47, 0xbf7d64f0, v22
	;; [unrolled: 1-line block ×9, first 2 shown]
	v_add_f32_e32 v2, v2, v3
	v_add_f32_e32 v3, v38, v54
	;; [unrolled: 1-line block ×6, first 2 shown]
	v_mul_f32_e32 v43, 0x3e903f40, v11
	v_mul_f32_e32 v44, 0x3f68dda4, v13
	;; [unrolled: 1-line block ×41, first 2 shown]
	v_fmamk_f32 v38, v10, 0xbe11bafb, v39
	v_fma_f32 v100, 0xbe11bafb, v21, -v47
	v_fmamk_f32 v105, v10, 0xbf27a4f4, v62
	v_fma_f32 v110, 0xbf27a4f4, v21, -v67
	v_fmamk_f32 v115, v10, 0xbf75a155, v72
	v_fma_f32 v120, 0xbf75a155, v21, -v77
	v_fma_f32 v72, 0xbf75a155, v10, -v72
	v_fmac_f32_e32 v77, 0xbf75a155, v21
	v_fma_f32 v62, 0xbf27a4f4, v10, -v62
	v_fmac_f32_e32 v67, 0xbf27a4f4, v21
	v_fma_f32 v10, 0xbe11bafb, v10, -v39
	v_fmac_f32_e32 v47, 0xbe11bafb, v21
	v_fmamk_f32 v39, v9, 0x3f68dda4, v82
	v_fmamk_f32 v125, v21, 0x3ed4b147, v87
	;; [unrolled: 1-line block ×3, first 2 shown]
	v_add_f32_e32 v2, v2, v8
	v_add_f32_e32 v3, v3, v56
	v_fmamk_f32 v54, v12, 0xbf75a155, v43
	v_fmamk_f32 v97, v14, 0x3ed4b147, v44
	v_fmamk_f32 v98, v17, 0x3f575c64, v45
	v_fmamk_f32 v99, v20, 0xbf27a4f4, v46
	v_fma_f32 v101, 0xbf75a155, v23, -v48
	v_fma_f32 v102, 0x3ed4b147, v25, -v49
	v_fma_f32 v103, 0x3f575c64, v28, -v50
	v_fma_f32 v104, 0xbf27a4f4, v30, -v52
	v_fmamk_f32 v106, v12, 0xbe11bafb, v63
	v_fmamk_f32 v107, v14, 0x3f575c64, v64
	v_fmamk_f32 v108, v17, 0xbf75a155, v65
	v_fmamk_f32 v109, v20, 0x3ed4b147, v66
	v_fma_f32 v111, 0xbe11bafb, v23, -v68
	v_fma_f32 v112, 0x3f575c64, v25, -v69
	v_fma_f32 v113, 0xbf75a155, v28, -v70
	v_fma_f32 v114, 0x3ed4b147, v30, -v71
	;; [unrolled: 8-line block ×3, first 2 shown]
	v_fma_f32 v73, 0x3f575c64, v12, -v73
	v_fma_f32 v74, 0xbf27a4f4, v14, -v74
	v_fma_f32 v75, 0x3ed4b147, v17, -v75
	v_fma_f32 v76, 0xbe11bafb, v20, -v76
	v_fmac_f32_e32 v78, 0x3f575c64, v23
	v_fmac_f32_e32 v79, 0xbf27a4f4, v25
	v_fmac_f32_e32 v80, 0x3ed4b147, v28
	v_fmac_f32_e32 v81, 0xbe11bafb, v30
	v_fma_f32 v63, 0xbe11bafb, v12, -v63
	v_fma_f32 v64, 0x3f575c64, v14, -v64
	v_fma_f32 v65, 0xbf75a155, v17, -v65
	v_fma_f32 v66, 0x3ed4b147, v20, -v66
	v_fmac_f32_e32 v68, 0xbe11bafb, v23
	v_fmac_f32_e32 v69, 0x3f575c64, v25
	v_fmac_f32_e32 v70, 0xbf75a155, v28
	v_fmac_f32_e32 v71, 0x3ed4b147, v30
	;; [unrolled: 8-line block ×3, first 2 shown]
	v_fmamk_f32 v43, v11, 0x3f4178ce, v83
	v_fmamk_f32 v44, v13, 0xbe903f40, v84
	;; [unrolled: 1-line block ×17, first 2 shown]
	v_fmac_f32_e32 v82, 0xbf68dda4, v9
	v_fmac_f32_e32 v83, 0xbf4178ce, v11
	;; [unrolled: 1-line block ×5, first 2 shown]
	v_fma_f32 v8, 0x3ed4b147, v21, -v87
	v_fma_f32 v56, 0xbf27a4f4, v23, -v88
	;; [unrolled: 1-line block ×5, first 2 shown]
	v_fmac_f32_e32 v92, 0xbf0a6770, v9
	v_fmac_f32_e32 v93, 0xbf68dda4, v11
	;; [unrolled: 1-line block ×5, first 2 shown]
	v_fma_f32 v9, 0x3f575c64, v21, -v22
	v_fma_f32 v11, 0x3ed4b147, v23, -v24
	;; [unrolled: 1-line block ×5, first 2 shown]
	v_add_f32_e32 v19, v1, v38
	v_add_f32_e32 v22, v0, v100
	;; [unrolled: 1-line block ×114, first 2 shown]
	ds_write2_b64 v35, v[12:13], v[10:11] offset0:84 offset1:254
	ds_write2_b64 v40, v[8:9], v[6:7] offset0:40 offset1:210
	;; [unrolled: 1-line block ×4, first 2 shown]
	ds_write2_b64 v42, v[20:21], v[14:15] offset1:170
	ds_write_b64 v42, v[18:19] offset:13600
.LBB0_19:
	s_or_b32 exec_lo, exec_lo, s1
	s_waitcnt lgkmcnt(0)
	s_barrier
	buffer_gl0_inv
	ds_read_b64 v[2:3], v42
	v_lshlrev_b32_e32 v0, 3, v34
	s_add_u32 s1, s12, 0x39e8
	s_addc_u32 s4, s13, 0
	s_mov_b32 s5, exec_lo
                                        ; implicit-def: $vgpr7
                                        ; implicit-def: $vgpr8
                                        ; implicit-def: $vgpr4_vgpr5
	v_sub_nc_u32_e32 v6, 0, v0
                                        ; implicit-def: $vgpr0
	v_cmpx_ne_u32_e32 0, v34
	s_xor_b32 s5, exec_lo, s5
	s_cbranch_execz .LBB0_21
; %bb.20:
	v_mov_b32_e32 v35, 0
	ds_read_b64 v[4:5], v6 offset:14960
	v_lshlrev_b64 v[0:1], 3, v[34:35]
	v_add_co_u32 v0, s0, s1, v0
	v_add_co_ci_u32_e64 v1, s0, s4, v1, s0
	global_load_dwordx2 v[0:1], v[0:1], off
	s_waitcnt lgkmcnt(0)
	v_sub_f32_e32 v7, v2, v4
	v_add_f32_e32 v8, v5, v3
	v_sub_f32_e32 v3, v3, v5
	v_add_f32_e32 v2, v4, v2
	v_mul_f32_e32 v5, 0.5, v7
	v_mul_f32_e32 v9, 0.5, v8
	;; [unrolled: 1-line block ×3, first 2 shown]
	s_waitcnt vmcnt(0)
	v_mul_f32_e32 v4, v1, v5
	v_fma_f32 v8, v9, v1, v3
	v_fma_f32 v1, v9, v1, -v3
	v_fma_f32 v7, 0.5, v2, v4
	v_fma_f32 v2, v2, 0.5, -v4
	v_fma_f32 v8, -v0, v5, v8
	v_fma_f32 v1, -v0, v5, v1
	v_mov_b32_e32 v4, v34
	v_fmac_f32_e32 v7, v0, v9
	v_fma_f32 v0, -v0, v9, v2
	v_mov_b32_e32 v5, v35
                                        ; implicit-def: $vgpr2_vgpr3
.LBB0_21:
	s_andn2_saveexec_b32 s0, s5
	s_cbranch_execz .LBB0_23
; %bb.22:
	v_mov_b32_e32 v8, 0
	v_mov_b32_e32 v4, 0
	s_waitcnt lgkmcnt(0)
	v_add_f32_e32 v7, v2, v3
	v_sub_f32_e32 v0, v2, v3
	v_mov_b32_e32 v5, 0
	ds_read_b32 v1, v8 offset:7484
	s_waitcnt lgkmcnt(0)
	v_xor_b32_e32 v2, 0x80000000, v1
	v_mov_b32_e32 v1, 0
	ds_write_b32 v8, v2 offset:7484
.LBB0_23:
	s_or_b32 exec_lo, exec_lo, s0
	s_waitcnt lgkmcnt(0)
	v_lshlrev_b64 v[2:3], 3, v[4:5]
	v_add_co_u32 v2, s0, s1, v2
	v_add_co_ci_u32_e64 v3, s0, s4, v3, s0
	v_add_co_u32 v9, s0, 0x800, v2
	global_load_dwordx2 v[4:5], v[2:3], off offset:1496
	v_add_co_ci_u32_e64 v10, s0, 0, v3, s0
	global_load_dwordx2 v[9:10], v[9:10], off offset:944
	v_add_co_u32 v2, s0, 0x1000, v2
	v_add_co_ci_u32_e64 v3, s0, 0, v3, s0
	s_clause 0x1
	global_load_dwordx2 v[11:12], v[2:3], off offset:392
	global_load_dwordx2 v[2:3], v[2:3], off offset:1888
	ds_write2_b32 v42, v7, v8 offset1:1
	ds_write_b64 v6, v[0:1] offset:14960
	ds_read_b64 v[0:1], v42 offset:1496
	ds_read_b64 v[7:8], v6 offset:13464
	s_waitcnt lgkmcnt(0)
	v_sub_f32_e32 v13, v0, v7
	v_add_f32_e32 v14, v1, v8
	v_sub_f32_e32 v1, v1, v8
	v_add_f32_e32 v0, v0, v7
	v_mul_f32_e32 v8, 0.5, v13
	v_mul_f32_e32 v13, 0.5, v14
	v_mul_f32_e32 v1, 0.5, v1
	s_waitcnt vmcnt(3)
	v_mul_f32_e32 v7, v5, v8
	v_fma_f32 v14, v13, v5, v1
	v_fma_f32 v1, v13, v5, -v1
	v_fma_f32 v5, 0.5, v0, v7
	v_fma_f32 v0, v0, 0.5, -v7
	v_add_nc_u32_e32 v7, 0x400, v42
	v_fma_f32 v14, -v4, v8, v14
	v_fma_f32 v1, -v4, v8, v1
	v_fmac_f32_e32 v5, v4, v13
	v_fma_f32 v0, -v4, v13, v0
	ds_write2_b32 v7, v5, v14 offset0:118 offset1:119
	ds_write_b64 v6, v[0:1] offset:13464
	ds_read_b64 v[0:1], v42 offset:2992
	ds_read_b64 v[4:5], v6 offset:11968
	s_waitcnt lgkmcnt(0)
	v_sub_f32_e32 v7, v0, v4
	v_add_f32_e32 v8, v1, v5
	v_sub_f32_e32 v1, v1, v5
	v_add_f32_e32 v0, v0, v4
	v_mul_f32_e32 v5, 0.5, v7
	v_mul_f32_e32 v7, 0.5, v8
	v_mul_f32_e32 v1, 0.5, v1
	s_waitcnt vmcnt(2)
	v_mul_f32_e32 v4, v10, v5
	v_fma_f32 v8, v7, v10, v1
	v_fma_f32 v1, v7, v10, -v1
	v_fma_f32 v10, 0.5, v0, v4
	v_fma_f32 v0, v0, 0.5, -v4
	v_add_nc_u32_e32 v4, 0x800, v42
	v_fma_f32 v8, -v9, v5, v8
	v_fma_f32 v1, -v9, v5, v1
	v_fmac_f32_e32 v10, v9, v7
	v_fma_f32 v0, -v9, v7, v0
	ds_write2_b32 v4, v10, v8 offset0:236 offset1:237
	;; [unrolled: 23-line block ×4, first 2 shown]
	ds_write_b64 v6, v[0:1] offset:8976
	s_waitcnt lgkmcnt(0)
	s_barrier
	buffer_gl0_inv
	s_and_saveexec_b32 s0, vcc_lo
	s_cbranch_execz .LBB0_26
; %bb.24:
	v_mul_lo_u32 v2, s3, v36
	v_mul_lo_u32 v3, s2, v37
	v_mad_u64_u32 v[0:1], null, s2, v36, 0
	v_lshl_add_u32 v16, v34, 3, 0
	v_mov_b32_e32 v35, 0
	v_lshlrev_b64 v[6:7], 3, v[32:33]
	v_add_nc_u32_e32 v10, 0xbb, v34
	v_add_nc_u32_e32 v12, 0x176, v34
	;; [unrolled: 1-line block ×3, first 2 shown]
	v_add3_u32 v1, v1, v3, v2
	ds_read2_b64 v[2:5], v16 offset1:187
	v_lshlrev_b64 v[14:15], 3, v[34:35]
	v_mov_b32_e32 v11, v35
	v_mov_b32_e32 v13, v35
	v_lshlrev_b64 v[0:1], 3, v[0:1]
	v_add_nc_u32_e32 v17, 0x1600, v16
	v_lshlrev_b64 v[10:11], 3, v[10:11]
	v_lshlrev_b64 v[12:13], 3, v[12:13]
	v_add_co_u32 v0, vcc_lo, s10, v0
	v_add_co_ci_u32_e32 v1, vcc_lo, s11, v1, vcc_lo
	v_add_co_u32 v0, vcc_lo, v0, v6
	v_add_co_ci_u32_e32 v1, vcc_lo, v1, v7, vcc_lo
	ds_read2_b64 v[6:9], v8 offset0:54 offset1:241
	v_add_co_u32 v14, vcc_lo, v0, v14
	v_add_co_ci_u32_e32 v15, vcc_lo, v1, v15, vcc_lo
	s_waitcnt lgkmcnt(1)
	global_store_dwordx2 v[14:15], v[2:3], off
	v_add_co_u32 v2, vcc_lo, v0, v10
	v_add_co_ci_u32_e32 v3, vcc_lo, v1, v11, vcc_lo
	v_add_co_u32 v10, vcc_lo, v0, v12
	v_add_co_ci_u32_e32 v11, vcc_lo, v1, v13, vcc_lo
	v_add_nc_u32_e32 v12, 0x231, v34
	v_mov_b32_e32 v13, v35
	global_store_dwordx2 v[2:3], v[4:5], off
	s_waitcnt lgkmcnt(0)
	global_store_dwordx2 v[10:11], v[6:7], off
	v_add_nc_u32_e32 v14, 0x2ec, v34
	v_mov_b32_e32 v15, v35
	ds_read2_b64 v[2:5], v17 offset0:44 offset1:231
	v_lshlrev_b64 v[6:7], 3, v[12:13]
	v_add_nc_u32_e32 v12, 0x3a7, v34
	v_add_nc_u32_e32 v17, 0x2200, v16
	v_lshlrev_b64 v[10:11], 3, v[14:15]
	v_add_nc_u32_e32 v14, 0x462, v34
	v_add_nc_u32_e32 v16, 0x2e00, v16
	v_add_co_u32 v6, vcc_lo, v0, v6
	v_lshlrev_b64 v[12:13], 3, v[12:13]
	v_add_co_ci_u32_e32 v7, vcc_lo, v1, v7, vcc_lo
	v_add_co_u32 v10, vcc_lo, v0, v10
	v_add_co_ci_u32_e32 v11, vcc_lo, v1, v11, vcc_lo
	v_add_co_u32 v12, vcc_lo, v0, v12
	v_add_co_ci_u32_e32 v13, vcc_lo, v1, v13, vcc_lo
	global_store_dwordx2 v[6:7], v[8:9], off
	s_waitcnt lgkmcnt(0)
	global_store_dwordx2 v[10:11], v[2:3], off
	global_store_dwordx2 v[12:13], v[4:5], off
	v_lshlrev_b64 v[6:7], 3, v[14:15]
	v_add_nc_u32_e32 v8, 0x51d, v34
	v_mov_b32_e32 v9, v35
	v_add_nc_u32_e32 v10, 0x5d8, v34
	v_mov_b32_e32 v11, v35
	ds_read2_b64 v[2:5], v17 offset0:34 offset1:221
	v_add_co_u32 v12, vcc_lo, v0, v6
	v_lshlrev_b64 v[14:15], 3, v[8:9]
	v_add_co_ci_u32_e32 v13, vcc_lo, v1, v7, vcc_lo
	ds_read2_b64 v[6:9], v16 offset0:24 offset1:211
	v_add_nc_u32_e32 v16, 0x693, v34
	v_mov_b32_e32 v17, v35
	v_lshlrev_b64 v[10:11], 3, v[10:11]
	v_add_co_u32 v14, vcc_lo, v0, v14
	v_add_co_ci_u32_e32 v15, vcc_lo, v1, v15, vcc_lo
	v_lshlrev_b64 v[16:17], 3, v[16:17]
	v_add_co_u32 v10, vcc_lo, v0, v10
	v_add_co_ci_u32_e32 v11, vcc_lo, v1, v11, vcc_lo
	v_add_co_u32 v16, vcc_lo, v0, v16
	v_add_co_ci_u32_e32 v17, vcc_lo, v1, v17, vcc_lo
	v_cmp_eq_u32_e32 vcc_lo, 0xba, v34
	s_waitcnt lgkmcnt(1)
	global_store_dwordx2 v[12:13], v[2:3], off
	global_store_dwordx2 v[14:15], v[4:5], off
	s_waitcnt lgkmcnt(0)
	global_store_dwordx2 v[10:11], v[6:7], off
	global_store_dwordx2 v[16:17], v[8:9], off
	s_and_b32 exec_lo, exec_lo, vcc_lo
	s_cbranch_execz .LBB0_26
; %bb.25:
	ds_read_b64 v[2:3], v35 offset:14960
	v_add_co_u32 v0, vcc_lo, 0x3800, v0
	v_add_co_ci_u32_e32 v1, vcc_lo, 0, v1, vcc_lo
	s_waitcnt lgkmcnt(0)
	global_store_dwordx2 v[0:1], v[2:3], off offset:624
.LBB0_26:
	s_endpgm
	.section	.rodata,"a",@progbits
	.p2align	6, 0x0
	.amdhsa_kernel fft_rtc_back_len1870_factors_17_10_11_wgs_187_tpt_187_halfLds_sp_op_CI_CI_unitstride_sbrr_R2C_dirReg
		.amdhsa_group_segment_fixed_size 0
		.amdhsa_private_segment_fixed_size 0
		.amdhsa_kernarg_size 104
		.amdhsa_user_sgpr_count 6
		.amdhsa_user_sgpr_private_segment_buffer 1
		.amdhsa_user_sgpr_dispatch_ptr 0
		.amdhsa_user_sgpr_queue_ptr 0
		.amdhsa_user_sgpr_kernarg_segment_ptr 1
		.amdhsa_user_sgpr_dispatch_id 0
		.amdhsa_user_sgpr_flat_scratch_init 0
		.amdhsa_user_sgpr_private_segment_size 0
		.amdhsa_wavefront_size32 1
		.amdhsa_uses_dynamic_stack 0
		.amdhsa_system_sgpr_private_segment_wavefront_offset 0
		.amdhsa_system_sgpr_workgroup_id_x 1
		.amdhsa_system_sgpr_workgroup_id_y 0
		.amdhsa_system_sgpr_workgroup_id_z 0
		.amdhsa_system_sgpr_workgroup_info 0
		.amdhsa_system_vgpr_workitem_id 0
		.amdhsa_next_free_vgpr 158
		.amdhsa_next_free_sgpr 27
		.amdhsa_reserve_vcc 1
		.amdhsa_reserve_flat_scratch 0
		.amdhsa_float_round_mode_32 0
		.amdhsa_float_round_mode_16_64 0
		.amdhsa_float_denorm_mode_32 3
		.amdhsa_float_denorm_mode_16_64 3
		.amdhsa_dx10_clamp 1
		.amdhsa_ieee_mode 1
		.amdhsa_fp16_overflow 0
		.amdhsa_workgroup_processor_mode 1
		.amdhsa_memory_ordered 1
		.amdhsa_forward_progress 0
		.amdhsa_shared_vgpr_count 0
		.amdhsa_exception_fp_ieee_invalid_op 0
		.amdhsa_exception_fp_denorm_src 0
		.amdhsa_exception_fp_ieee_div_zero 0
		.amdhsa_exception_fp_ieee_overflow 0
		.amdhsa_exception_fp_ieee_underflow 0
		.amdhsa_exception_fp_ieee_inexact 0
		.amdhsa_exception_int_div_zero 0
	.end_amdhsa_kernel
	.text
.Lfunc_end0:
	.size	fft_rtc_back_len1870_factors_17_10_11_wgs_187_tpt_187_halfLds_sp_op_CI_CI_unitstride_sbrr_R2C_dirReg, .Lfunc_end0-fft_rtc_back_len1870_factors_17_10_11_wgs_187_tpt_187_halfLds_sp_op_CI_CI_unitstride_sbrr_R2C_dirReg
                                        ; -- End function
	.section	.AMDGPU.csdata,"",@progbits
; Kernel info:
; codeLenInByte = 11980
; NumSgprs: 29
; NumVgprs: 158
; ScratchSize: 0
; MemoryBound: 0
; FloatMode: 240
; IeeeMode: 1
; LDSByteSize: 0 bytes/workgroup (compile time only)
; SGPRBlocks: 3
; VGPRBlocks: 19
; NumSGPRsForWavesPerEU: 29
; NumVGPRsForWavesPerEU: 158
; Occupancy: 6
; WaveLimiterHint : 1
; COMPUTE_PGM_RSRC2:SCRATCH_EN: 0
; COMPUTE_PGM_RSRC2:USER_SGPR: 6
; COMPUTE_PGM_RSRC2:TRAP_HANDLER: 0
; COMPUTE_PGM_RSRC2:TGID_X_EN: 1
; COMPUTE_PGM_RSRC2:TGID_Y_EN: 0
; COMPUTE_PGM_RSRC2:TGID_Z_EN: 0
; COMPUTE_PGM_RSRC2:TIDIG_COMP_CNT: 0
	.text
	.p2alignl 6, 3214868480
	.fill 48, 4, 3214868480
	.type	__hip_cuid_43b426341fd64083,@object ; @__hip_cuid_43b426341fd64083
	.section	.bss,"aw",@nobits
	.globl	__hip_cuid_43b426341fd64083
__hip_cuid_43b426341fd64083:
	.byte	0                               ; 0x0
	.size	__hip_cuid_43b426341fd64083, 1

	.ident	"AMD clang version 19.0.0git (https://github.com/RadeonOpenCompute/llvm-project roc-6.4.0 25133 c7fe45cf4b819c5991fe208aaa96edf142730f1d)"
	.section	".note.GNU-stack","",@progbits
	.addrsig
	.addrsig_sym __hip_cuid_43b426341fd64083
	.amdgpu_metadata
---
amdhsa.kernels:
  - .args:
      - .actual_access:  read_only
        .address_space:  global
        .offset:         0
        .size:           8
        .value_kind:     global_buffer
      - .offset:         8
        .size:           8
        .value_kind:     by_value
      - .actual_access:  read_only
        .address_space:  global
        .offset:         16
        .size:           8
        .value_kind:     global_buffer
      - .actual_access:  read_only
        .address_space:  global
        .offset:         24
        .size:           8
        .value_kind:     global_buffer
      - .actual_access:  read_only
        .address_space:  global
        .offset:         32
        .size:           8
        .value_kind:     global_buffer
      - .offset:         40
        .size:           8
        .value_kind:     by_value
      - .actual_access:  read_only
        .address_space:  global
        .offset:         48
        .size:           8
        .value_kind:     global_buffer
      - .actual_access:  read_only
        .address_space:  global
        .offset:         56
        .size:           8
        .value_kind:     global_buffer
      - .offset:         64
        .size:           4
        .value_kind:     by_value
      - .actual_access:  read_only
        .address_space:  global
        .offset:         72
        .size:           8
        .value_kind:     global_buffer
      - .actual_access:  read_only
        .address_space:  global
        .offset:         80
        .size:           8
        .value_kind:     global_buffer
      - .actual_access:  read_only
        .address_space:  global
        .offset:         88
        .size:           8
        .value_kind:     global_buffer
      - .actual_access:  write_only
        .address_space:  global
        .offset:         96
        .size:           8
        .value_kind:     global_buffer
    .group_segment_fixed_size: 0
    .kernarg_segment_align: 8
    .kernarg_segment_size: 104
    .language:       OpenCL C
    .language_version:
      - 2
      - 0
    .max_flat_workgroup_size: 187
    .name:           fft_rtc_back_len1870_factors_17_10_11_wgs_187_tpt_187_halfLds_sp_op_CI_CI_unitstride_sbrr_R2C_dirReg
    .private_segment_fixed_size: 0
    .sgpr_count:     29
    .sgpr_spill_count: 0
    .symbol:         fft_rtc_back_len1870_factors_17_10_11_wgs_187_tpt_187_halfLds_sp_op_CI_CI_unitstride_sbrr_R2C_dirReg.kd
    .uniform_work_group_size: 1
    .uses_dynamic_stack: false
    .vgpr_count:     158
    .vgpr_spill_count: 0
    .wavefront_size: 32
    .workgroup_processor_mode: 1
amdhsa.target:   amdgcn-amd-amdhsa--gfx1030
amdhsa.version:
  - 1
  - 2
...

	.end_amdgpu_metadata
